;; amdgpu-corpus repo=zjin-lcf/HeCBench kind=compiled arch=gfx906 opt=O3
	.amdgcn_target "amdgcn-amd-amdhsa--gfx906"
	.amdhsa_code_object_version 6
	.text
	.protected	_Z19reaction_gray_scottPKfS0_PfS1_jff ; -- Begin function _Z19reaction_gray_scottPKfS0_PfS1_jff
	.globl	_Z19reaction_gray_scottPKfS0_PfS1_jff
	.p2align	8
	.type	_Z19reaction_gray_scottPKfS0_PfS1_jff,@function
_Z19reaction_gray_scottPKfS0_PfS1_jff:  ; @_Z19reaction_gray_scottPKfS0_PfS1_jff
; %bb.0:
	s_load_dword s7, s[4:5], 0x3c
	s_load_dwordx4 s[0:3], s[4:5], 0x20
	s_add_u32 s16, s4, 48
	s_addc_u32 s17, s5, 0
	s_waitcnt lgkmcnt(0)
	s_and_b32 s3, s7, 0xffff
	s_mul_i32 s6, s6, s3
	v_add_u32_e32 v0, s6, v0
	v_cmp_gt_u32_e32 vcc, s0, v0
	s_and_saveexec_b64 s[6:7], vcc
	s_cbranch_execz .LBB0_3
; %bb.1:
	s_load_dword s6, s[16:17], 0x0
	s_load_dwordx8 s[8:15], s[4:5], 0x0
	v_mov_b32_e32 v2, s2
	v_ashrrev_i32_e32 v1, 31, v0
	v_add_f32_e32 v3, s1, v2
	s_waitcnt lgkmcnt(0)
	s_mul_i32 s2, s6, s3
	s_ashr_i32 s3, s2, 31
	v_lshlrev_b64 v[1:2], 2, v[0:1]
	s_lshl_b64 s[4:5], s[2:3], 2
	s_mov_b64 s[6:7], 0
	v_mov_b32_e32 v4, s9
	v_mov_b32_e32 v5, s11
	;; [unrolled: 1-line block ×5, first 2 shown]
.LBB0_2:                                ; =>This Inner Loop Header: Depth=1
	v_add_co_u32_e32 v9, vcc, s8, v1
	v_addc_co_u32_e32 v10, vcc, v4, v2, vcc
	v_add_co_u32_e32 v11, vcc, s10, v1
	v_addc_co_u32_e32 v12, vcc, v5, v2, vcc
	global_load_dword v13, v[9:10], off
	global_load_dword v14, v[11:12], off
	v_add_co_u32_e32 v9, vcc, s12, v1
	v_addc_co_u32_e32 v10, vcc, v6, v2, vcc
	v_add_co_u32_e32 v11, vcc, s14, v1
	v_addc_co_u32_e32 v12, vcc, v7, v2, vcc
	v_add_co_u32_e32 v1, vcc, s4, v1
	v_add_u32_e32 v0, s2, v0
	v_addc_co_u32_e32 v2, vcc, v2, v8, vcc
	v_cmp_le_u32_e32 vcc, s0, v0
	s_or_b64 s[6:7], vcc, s[6:7]
	s_waitcnt vmcnt(0)
	v_mul_f32_e32 v15, v13, v14
	v_sub_f32_e32 v13, 1.0, v13
	v_mul_f32_e32 v15, v14, v15
	v_fma_f32 v13, s1, v13, -v15
	v_fma_f32 v14, -v3, v14, v15
	global_store_dword v[9:10], v13, off
	global_store_dword v[11:12], v14, off
	s_andn2_b64 exec, exec, s[6:7]
	s_cbranch_execnz .LBB0_2
.LBB0_3:
	s_endpgm
	.section	.rodata,"a",@progbits
	.p2align	6, 0x0
	.amdhsa_kernel _Z19reaction_gray_scottPKfS0_PfS1_jff
		.amdhsa_group_segment_fixed_size 0
		.amdhsa_private_segment_fixed_size 0
		.amdhsa_kernarg_size 304
		.amdhsa_user_sgpr_count 6
		.amdhsa_user_sgpr_private_segment_buffer 1
		.amdhsa_user_sgpr_dispatch_ptr 0
		.amdhsa_user_sgpr_queue_ptr 0
		.amdhsa_user_sgpr_kernarg_segment_ptr 1
		.amdhsa_user_sgpr_dispatch_id 0
		.amdhsa_user_sgpr_flat_scratch_init 0
		.amdhsa_user_sgpr_private_segment_size 0
		.amdhsa_uses_dynamic_stack 0
		.amdhsa_system_sgpr_private_segment_wavefront_offset 0
		.amdhsa_system_sgpr_workgroup_id_x 1
		.amdhsa_system_sgpr_workgroup_id_y 0
		.amdhsa_system_sgpr_workgroup_id_z 0
		.amdhsa_system_sgpr_workgroup_info 0
		.amdhsa_system_vgpr_workitem_id 0
		.amdhsa_next_free_vgpr 16
		.amdhsa_next_free_sgpr 18
		.amdhsa_reserve_vcc 1
		.amdhsa_reserve_flat_scratch 0
		.amdhsa_float_round_mode_32 0
		.amdhsa_float_round_mode_16_64 0
		.amdhsa_float_denorm_mode_32 3
		.amdhsa_float_denorm_mode_16_64 3
		.amdhsa_dx10_clamp 1
		.amdhsa_ieee_mode 1
		.amdhsa_fp16_overflow 0
		.amdhsa_exception_fp_ieee_invalid_op 0
		.amdhsa_exception_fp_denorm_src 0
		.amdhsa_exception_fp_ieee_div_zero 0
		.amdhsa_exception_fp_ieee_overflow 0
		.amdhsa_exception_fp_ieee_underflow 0
		.amdhsa_exception_fp_ieee_inexact 0
		.amdhsa_exception_int_div_zero 0
	.end_amdhsa_kernel
	.text
.Lfunc_end0:
	.size	_Z19reaction_gray_scottPKfS0_PfS1_jff, .Lfunc_end0-_Z19reaction_gray_scottPKfS0_PfS1_jff
                                        ; -- End function
	.set _Z19reaction_gray_scottPKfS0_PfS1_jff.num_vgpr, 16
	.set _Z19reaction_gray_scottPKfS0_PfS1_jff.num_agpr, 0
	.set _Z19reaction_gray_scottPKfS0_PfS1_jff.numbered_sgpr, 18
	.set _Z19reaction_gray_scottPKfS0_PfS1_jff.num_named_barrier, 0
	.set _Z19reaction_gray_scottPKfS0_PfS1_jff.private_seg_size, 0
	.set _Z19reaction_gray_scottPKfS0_PfS1_jff.uses_vcc, 1
	.set _Z19reaction_gray_scottPKfS0_PfS1_jff.uses_flat_scratch, 0
	.set _Z19reaction_gray_scottPKfS0_PfS1_jff.has_dyn_sized_stack, 0
	.set _Z19reaction_gray_scottPKfS0_PfS1_jff.has_recursion, 0
	.set _Z19reaction_gray_scottPKfS0_PfS1_jff.has_indirect_call, 0
	.section	.AMDGPU.csdata,"",@progbits
; Kernel info:
; codeLenInByte = 260
; TotalNumSgprs: 22
; NumVgprs: 16
; ScratchSize: 0
; MemoryBound: 0
; FloatMode: 240
; IeeeMode: 1
; LDSByteSize: 0 bytes/workgroup (compile time only)
; SGPRBlocks: 2
; VGPRBlocks: 3
; NumSGPRsForWavesPerEU: 22
; NumVGPRsForWavesPerEU: 16
; Occupancy: 10
; WaveLimiterHint : 0
; COMPUTE_PGM_RSRC2:SCRATCH_EN: 0
; COMPUTE_PGM_RSRC2:USER_SGPR: 6
; COMPUTE_PGM_RSRC2:TRAP_HANDLER: 0
; COMPUTE_PGM_RSRC2:TGID_X_EN: 1
; COMPUTE_PGM_RSRC2:TGID_Y_EN: 0
; COMPUTE_PGM_RSRC2:TGID_Z_EN: 0
; COMPUTE_PGM_RSRC2:TIDIG_COMP_CNT: 0
	.text
	.protected	_Z17derivative_x2_pbcPKfPfjjj ; -- Begin function _Z17derivative_x2_pbcPKfPfjjj
	.globl	_Z17derivative_x2_pbcPKfPfjjj
	.p2align	8
	.type	_Z17derivative_x2_pbcPKfPfjjj,@function
_Z17derivative_x2_pbcPKfPfjjj:          ; @_Z17derivative_x2_pbcPKfPfjjj
; %bb.0:
	s_load_dword s0, s[4:5], 0x2c
	s_load_dwordx2 s[8:9], s[4:5], 0x10
	s_waitcnt lgkmcnt(0)
	s_lshr_b32 s0, s0, 16
	s_mul_i32 s0, s6, s0
	s_mul_i32 s1, s9, s7
	s_add_i32 s0, s0, s1
	v_add_u32_e32 v2, s0, v1
	v_mad_u64_u32 v[2:3], s[0:1], v2, s8, v[0:1]
	s_load_dwordx4 s[0:3], s[4:5], 0x0
	v_ashrrev_i32_e32 v3, 31, v2
	v_lshlrev_b64 v[2:3], 2, v[2:3]
	s_waitcnt lgkmcnt(0)
	v_mov_b32_e32 v5, s1
	v_add_co_u32_e32 v4, vcc, s0, v2
	v_addc_co_u32_e32 v5, vcc, v5, v3, vcc
	global_load_dword v5, v[4:5], off
	s_add_i32 s0, s8, 2
	v_mul_lo_u32 v4, s0, v1
	v_cmp_eq_u32_e32 vcc, 0, v0
	v_add_u32_e32 v1, v0, v4
	v_lshl_add_u32 v1, v1, 2, 0
	s_waitcnt vmcnt(0)
	ds_write_b32 v1, v5 offset:4
	s_waitcnt lgkmcnt(0)
	s_barrier
	s_and_saveexec_b64 s[0:1], vcc
	s_cbranch_execz .LBB1_2
; %bb.1:
	v_lshl_add_u32 v5, v4, 2, 0
	v_lshl_add_u32 v6, s8, 2, v5
	ds_read_b32 v7, v6
	s_waitcnt lgkmcnt(0)
	ds_write_b32 v5, v7
	ds_read_b32 v5, v1 offset:4
	s_waitcnt lgkmcnt(0)
	ds_write_b32 v6, v5 offset:4
.LBB1_2:
	s_or_b64 exec, exec, s[0:1]
	v_lshlrev_b32_e32 v4, 2, v4
	v_lshlrev_b32_e32 v0, 2, v0
	v_add3_u32 v0, 0, v4, v0
	s_waitcnt lgkmcnt(0)
	s_barrier
	ds_read_b32 v4, v1 offset:8
	ds_read2_b32 v[0:1], v0 offset1:1
	s_waitcnt lgkmcnt(0)
	v_fmac_f32_e32 v4, -2.0, v1
	v_add_f32_e32 v4, v0, v4
	v_mov_b32_e32 v1, s3
	v_add_co_u32_e32 v0, vcc, s2, v2
	v_addc_co_u32_e32 v1, vcc, v1, v3, vcc
	global_store_dword v[0:1], v4, off
	s_endpgm
	.section	.rodata,"a",@progbits
	.p2align	6, 0x0
	.amdhsa_kernel _Z17derivative_x2_pbcPKfPfjjj
		.amdhsa_group_segment_fixed_size 0
		.amdhsa_private_segment_fixed_size 0
		.amdhsa_kernarg_size 288
		.amdhsa_user_sgpr_count 6
		.amdhsa_user_sgpr_private_segment_buffer 1
		.amdhsa_user_sgpr_dispatch_ptr 0
		.amdhsa_user_sgpr_queue_ptr 0
		.amdhsa_user_sgpr_kernarg_segment_ptr 1
		.amdhsa_user_sgpr_dispatch_id 0
		.amdhsa_user_sgpr_flat_scratch_init 0
		.amdhsa_user_sgpr_private_segment_size 0
		.amdhsa_uses_dynamic_stack 0
		.amdhsa_system_sgpr_private_segment_wavefront_offset 0
		.amdhsa_system_sgpr_workgroup_id_x 1
		.amdhsa_system_sgpr_workgroup_id_y 1
		.amdhsa_system_sgpr_workgroup_id_z 0
		.amdhsa_system_sgpr_workgroup_info 0
		.amdhsa_system_vgpr_workitem_id 1
		.amdhsa_next_free_vgpr 8
		.amdhsa_next_free_sgpr 10
		.amdhsa_reserve_vcc 1
		.amdhsa_reserve_flat_scratch 0
		.amdhsa_float_round_mode_32 0
		.amdhsa_float_round_mode_16_64 0
		.amdhsa_float_denorm_mode_32 3
		.amdhsa_float_denorm_mode_16_64 3
		.amdhsa_dx10_clamp 1
		.amdhsa_ieee_mode 1
		.amdhsa_fp16_overflow 0
		.amdhsa_exception_fp_ieee_invalid_op 0
		.amdhsa_exception_fp_denorm_src 0
		.amdhsa_exception_fp_ieee_div_zero 0
		.amdhsa_exception_fp_ieee_overflow 0
		.amdhsa_exception_fp_ieee_underflow 0
		.amdhsa_exception_fp_ieee_inexact 0
		.amdhsa_exception_int_div_zero 0
	.end_amdhsa_kernel
	.text
.Lfunc_end1:
	.size	_Z17derivative_x2_pbcPKfPfjjj, .Lfunc_end1-_Z17derivative_x2_pbcPKfPfjjj
                                        ; -- End function
	.set _Z17derivative_x2_pbcPKfPfjjj.num_vgpr, 8
	.set _Z17derivative_x2_pbcPKfPfjjj.num_agpr, 0
	.set _Z17derivative_x2_pbcPKfPfjjj.numbered_sgpr, 10
	.set _Z17derivative_x2_pbcPKfPfjjj.num_named_barrier, 0
	.set _Z17derivative_x2_pbcPKfPfjjj.private_seg_size, 0
	.set _Z17derivative_x2_pbcPKfPfjjj.uses_vcc, 1
	.set _Z17derivative_x2_pbcPKfPfjjj.uses_flat_scratch, 0
	.set _Z17derivative_x2_pbcPKfPfjjj.has_dyn_sized_stack, 0
	.set _Z17derivative_x2_pbcPKfPfjjj.has_recursion, 0
	.set _Z17derivative_x2_pbcPKfPfjjj.has_indirect_call, 0
	.section	.AMDGPU.csdata,"",@progbits
; Kernel info:
; codeLenInByte = 284
; TotalNumSgprs: 14
; NumVgprs: 8
; ScratchSize: 0
; MemoryBound: 0
; FloatMode: 240
; IeeeMode: 1
; LDSByteSize: 0 bytes/workgroup (compile time only)
; SGPRBlocks: 1
; VGPRBlocks: 1
; NumSGPRsForWavesPerEU: 14
; NumVGPRsForWavesPerEU: 8
; Occupancy: 10
; WaveLimiterHint : 0
; COMPUTE_PGM_RSRC2:SCRATCH_EN: 0
; COMPUTE_PGM_RSRC2:USER_SGPR: 6
; COMPUTE_PGM_RSRC2:TRAP_HANDLER: 0
; COMPUTE_PGM_RSRC2:TGID_X_EN: 1
; COMPUTE_PGM_RSRC2:TGID_Y_EN: 1
; COMPUTE_PGM_RSRC2:TGID_Z_EN: 0
; COMPUTE_PGM_RSRC2:TIDIG_COMP_CNT: 1
	.text
	.protected	_Z22derivative_x2_zerofluxPKfPfjj ; -- Begin function _Z22derivative_x2_zerofluxPKfPfjj
	.globl	_Z22derivative_x2_zerofluxPKfPfjj
	.p2align	8
	.type	_Z22derivative_x2_zerofluxPKfPfjj,@function
_Z22derivative_x2_zerofluxPKfPfjj:      ; @_Z22derivative_x2_zerofluxPKfPfjj
; %bb.0:
	s_load_dword s0, s[4:5], 0x24
	s_load_dwordx2 s[8:9], s[4:5], 0x10
	s_waitcnt lgkmcnt(0)
	s_lshr_b32 s0, s0, 16
	s_mul_i32 s0, s6, s0
	s_mul_i32 s1, s9, s7
	s_add_i32 s0, s0, s1
	v_add_u32_e32 v2, s0, v1
	v_mad_u64_u32 v[2:3], s[0:1], v2, s8, v[0:1]
	s_load_dwordx4 s[0:3], s[4:5], 0x0
	v_mul_lo_u32 v1, s8, v1
	v_ashrrev_i32_e32 v3, 31, v2
	v_lshlrev_b64 v[2:3], 2, v[2:3]
	s_waitcnt lgkmcnt(0)
	v_mov_b32_e32 v5, s1
	v_add_co_u32_e32 v4, vcc, s0, v2
	v_addc_co_u32_e32 v5, vcc, v5, v3, vcc
	global_load_dword v4, v[4:5], off
	v_lshlrev_b32_e32 v5, 2, v0
	v_lshlrev_b32_e32 v1, 2, v1
	v_add3_u32 v5, 0, v1, v5
	v_cmp_ne_u32_e32 vcc, 0, v0
                                        ; implicit-def: $vgpr1
	s_waitcnt vmcnt(0)
	ds_write_b32 v5, v4
	s_waitcnt lgkmcnt(0)
	s_barrier
	ds_read_b32 v4, v5
	s_and_saveexec_b64 s[0:1], vcc
	s_xor_b64 s[0:1], exec, s[0:1]
	s_cbranch_execz .LBB2_6
; %bb.1:
	s_add_i32 s4, s8, -1
	v_cmp_ne_u32_e32 vcc, s4, v0
	v_add_u32_e32 v0, -4, v5
                                        ; implicit-def: $vgpr1
	s_and_saveexec_b64 s[4:5], vcc
	s_xor_b64 s[4:5], exec, s[4:5]
	s_cbranch_execz .LBB2_3
; %bb.2:
	ds_read_b32 v1, v5 offset:4
	ds_read_b32 v0, v0
	s_waitcnt lgkmcnt(1)
	v_fmac_f32_e32 v1, -2.0, v4
	s_waitcnt lgkmcnt(0)
	v_add_f32_e32 v1, v0, v1
                                        ; implicit-def: $vgpr0
                                        ; implicit-def: $vgpr4
.LBB2_3:
	s_andn2_saveexec_b64 s[4:5], s[4:5]
	s_cbranch_execz .LBB2_5
; %bb.4:
	ds_read_b32 v0, v0
	s_waitcnt lgkmcnt(0)
	v_sub_f32_e32 v1, v0, v4
.LBB2_5:
	s_or_b64 exec, exec, s[4:5]
                                        ; implicit-def: $vgpr5
                                        ; implicit-def: $vgpr4
.LBB2_6:
	s_andn2_saveexec_b64 s[0:1], s[0:1]
	s_cbranch_execz .LBB2_8
; %bb.7:
	ds_read_b32 v0, v5 offset:4
	s_waitcnt lgkmcnt(0)
	v_sub_f32_e32 v1, v0, v4
.LBB2_8:
	s_or_b64 exec, exec, s[0:1]
	v_mov_b32_e32 v0, s3
	v_add_co_u32_e32 v2, vcc, s2, v2
	v_addc_co_u32_e32 v3, vcc, v0, v3, vcc
	global_store_dword v[2:3], v1, off
	s_endpgm
	.section	.rodata,"a",@progbits
	.p2align	6, 0x0
	.amdhsa_kernel _Z22derivative_x2_zerofluxPKfPfjj
		.amdhsa_group_segment_fixed_size 0
		.amdhsa_private_segment_fixed_size 0
		.amdhsa_kernarg_size 280
		.amdhsa_user_sgpr_count 6
		.amdhsa_user_sgpr_private_segment_buffer 1
		.amdhsa_user_sgpr_dispatch_ptr 0
		.amdhsa_user_sgpr_queue_ptr 0
		.amdhsa_user_sgpr_kernarg_segment_ptr 1
		.amdhsa_user_sgpr_dispatch_id 0
		.amdhsa_user_sgpr_flat_scratch_init 0
		.amdhsa_user_sgpr_private_segment_size 0
		.amdhsa_uses_dynamic_stack 0
		.amdhsa_system_sgpr_private_segment_wavefront_offset 0
		.amdhsa_system_sgpr_workgroup_id_x 1
		.amdhsa_system_sgpr_workgroup_id_y 1
		.amdhsa_system_sgpr_workgroup_id_z 0
		.amdhsa_system_sgpr_workgroup_info 0
		.amdhsa_system_vgpr_workitem_id 1
		.amdhsa_next_free_vgpr 6
		.amdhsa_next_free_sgpr 10
		.amdhsa_reserve_vcc 1
		.amdhsa_reserve_flat_scratch 0
		.amdhsa_float_round_mode_32 0
		.amdhsa_float_round_mode_16_64 0
		.amdhsa_float_denorm_mode_32 3
		.amdhsa_float_denorm_mode_16_64 3
		.amdhsa_dx10_clamp 1
		.amdhsa_ieee_mode 1
		.amdhsa_fp16_overflow 0
		.amdhsa_exception_fp_ieee_invalid_op 0
		.amdhsa_exception_fp_denorm_src 0
		.amdhsa_exception_fp_ieee_div_zero 0
		.amdhsa_exception_fp_ieee_overflow 0
		.amdhsa_exception_fp_ieee_underflow 0
		.amdhsa_exception_fp_ieee_inexact 0
		.amdhsa_exception_int_div_zero 0
	.end_amdhsa_kernel
	.text
.Lfunc_end2:
	.size	_Z22derivative_x2_zerofluxPKfPfjj, .Lfunc_end2-_Z22derivative_x2_zerofluxPKfPfjj
                                        ; -- End function
	.set _Z22derivative_x2_zerofluxPKfPfjj.num_vgpr, 6
	.set _Z22derivative_x2_zerofluxPKfPfjj.num_agpr, 0
	.set _Z22derivative_x2_zerofluxPKfPfjj.numbered_sgpr, 10
	.set _Z22derivative_x2_zerofluxPKfPfjj.num_named_barrier, 0
	.set _Z22derivative_x2_zerofluxPKfPfjj.private_seg_size, 0
	.set _Z22derivative_x2_zerofluxPKfPfjj.uses_vcc, 1
	.set _Z22derivative_x2_zerofluxPKfPfjj.uses_flat_scratch, 0
	.set _Z22derivative_x2_zerofluxPKfPfjj.has_dyn_sized_stack, 0
	.set _Z22derivative_x2_zerofluxPKfPfjj.has_recursion, 0
	.set _Z22derivative_x2_zerofluxPKfPfjj.has_indirect_call, 0
	.section	.AMDGPU.csdata,"",@progbits
; Kernel info:
; codeLenInByte = 296
; TotalNumSgprs: 14
; NumVgprs: 6
; ScratchSize: 0
; MemoryBound: 0
; FloatMode: 240
; IeeeMode: 1
; LDSByteSize: 0 bytes/workgroup (compile time only)
; SGPRBlocks: 1
; VGPRBlocks: 1
; NumSGPRsForWavesPerEU: 14
; NumVGPRsForWavesPerEU: 6
; Occupancy: 10
; WaveLimiterHint : 0
; COMPUTE_PGM_RSRC2:SCRATCH_EN: 0
; COMPUTE_PGM_RSRC2:USER_SGPR: 6
; COMPUTE_PGM_RSRC2:TRAP_HANDLER: 0
; COMPUTE_PGM_RSRC2:TGID_X_EN: 1
; COMPUTE_PGM_RSRC2:TGID_Y_EN: 1
; COMPUTE_PGM_RSRC2:TGID_Z_EN: 0
; COMPUTE_PGM_RSRC2:TIDIG_COMP_CNT: 1
	.text
	.protected	_Z17derivative_y2_pbcPKfPfjjj ; -- Begin function _Z17derivative_y2_pbcPKfPfjjj
	.globl	_Z17derivative_y2_pbcPKfPfjjj
	.p2align	8
	.type	_Z17derivative_y2_pbcPKfPfjjj,@function
_Z17derivative_y2_pbcPKfPfjjj:          ; @_Z17derivative_y2_pbcPKfPfjjj
; %bb.0:
	s_load_dwordx8 s[8:15], s[4:5], 0x0
	s_load_dword s0, s[4:5], 0x2c
	v_add_u32_e32 v6, 1, v1
	s_waitcnt lgkmcnt(0)
	s_mul_i32 s1, s13, s7
	v_add_u32_e32 v2, s1, v1
	v_mul_lo_u32 v2, v2, s12
	s_and_b32 s0, s0, 0xffff
	s_mul_i32 s6, s6, s0
	v_mov_b32_e32 v5, s9
	v_add3_u32 v2, v2, v0, s6
	v_ashrrev_i32_e32 v3, 31, v2
	v_lshlrev_b64 v[2:3], 2, v[2:3]
	v_add_co_u32_e32 v4, vcc, s8, v2
	v_addc_co_u32_e32 v5, vcc, v5, v3, vcc
	global_load_dword v7, v[4:5], off
	v_mul_lo_u32 v4, s14, v6
	v_cmp_eq_u32_e32 vcc, 0, v1
	v_lshl_add_u32 v5, v4, 2, 0
	v_lshl_add_u32 v4, v0, 2, v5
	v_lshlrev_b32_e32 v0, 2, v0
	s_waitcnt vmcnt(0)
	ds_write_b32 v4, v7
	s_waitcnt lgkmcnt(0)
	s_barrier
	s_and_saveexec_b64 s[0:1], vcc
	s_cbranch_execz .LBB3_2
; %bb.1:
	s_mul_i32 s2, s14, s13
	s_lshl_b32 s2, s2, 2
	s_add_i32 s2, s2, 0
	v_add_u32_e32 v7, s2, v0
	ds_read_b32 v7, v7
	v_add_u32_e32 v8, 0, v0
	v_add_u32_e32 v6, s13, v6
	v_mul_lo_u32 v6, v6, s14
	s_waitcnt lgkmcnt(0)
	ds_write_b32 v8, v7
	ds_read_b32 v7, v4
	v_lshl_add_u32 v6, v6, 2, v8
	s_waitcnt lgkmcnt(0)
	ds_write_b32 v6, v7
.LBB3_2:
	s_or_b64 exec, exec, s[0:1]
	v_mul_lo_u32 v1, s14, v1
	s_lshl_b32 s0, s14, 2
	v_add3_u32 v5, v5, s0, v0
	s_waitcnt lgkmcnt(0)
	v_lshlrev_b32_e32 v1, 2, v1
	v_add3_u32 v0, 0, v1, v0
	s_barrier
	ds_read_b32 v1, v5
	ds_read_b32 v0, v0
	;; [unrolled: 1-line block ×3, first 2 shown]
	s_waitcnt lgkmcnt(0)
	v_fmac_f32_e32 v1, -2.0, v4
	v_add_f32_e32 v4, v0, v1
	v_mov_b32_e32 v1, s11
	v_add_co_u32_e32 v0, vcc, s10, v2
	v_addc_co_u32_e32 v1, vcc, v1, v3, vcc
	global_store_dword v[0:1], v4, off
	s_endpgm
	.section	.rodata,"a",@progbits
	.p2align	6, 0x0
	.amdhsa_kernel _Z17derivative_y2_pbcPKfPfjjj
		.amdhsa_group_segment_fixed_size 0
		.amdhsa_private_segment_fixed_size 0
		.amdhsa_kernarg_size 288
		.amdhsa_user_sgpr_count 6
		.amdhsa_user_sgpr_private_segment_buffer 1
		.amdhsa_user_sgpr_dispatch_ptr 0
		.amdhsa_user_sgpr_queue_ptr 0
		.amdhsa_user_sgpr_kernarg_segment_ptr 1
		.amdhsa_user_sgpr_dispatch_id 0
		.amdhsa_user_sgpr_flat_scratch_init 0
		.amdhsa_user_sgpr_private_segment_size 0
		.amdhsa_uses_dynamic_stack 0
		.amdhsa_system_sgpr_private_segment_wavefront_offset 0
		.amdhsa_system_sgpr_workgroup_id_x 1
		.amdhsa_system_sgpr_workgroup_id_y 1
		.amdhsa_system_sgpr_workgroup_id_z 0
		.amdhsa_system_sgpr_workgroup_info 0
		.amdhsa_system_vgpr_workitem_id 1
		.amdhsa_next_free_vgpr 9
		.amdhsa_next_free_sgpr 16
		.amdhsa_reserve_vcc 1
		.amdhsa_reserve_flat_scratch 0
		.amdhsa_float_round_mode_32 0
		.amdhsa_float_round_mode_16_64 0
		.amdhsa_float_denorm_mode_32 3
		.amdhsa_float_denorm_mode_16_64 3
		.amdhsa_dx10_clamp 1
		.amdhsa_ieee_mode 1
		.amdhsa_fp16_overflow 0
		.amdhsa_exception_fp_ieee_invalid_op 0
		.amdhsa_exception_fp_denorm_src 0
		.amdhsa_exception_fp_ieee_div_zero 0
		.amdhsa_exception_fp_ieee_overflow 0
		.amdhsa_exception_fp_ieee_underflow 0
		.amdhsa_exception_fp_ieee_inexact 0
		.amdhsa_exception_int_div_zero 0
	.end_amdhsa_kernel
	.text
.Lfunc_end3:
	.size	_Z17derivative_y2_pbcPKfPfjjj, .Lfunc_end3-_Z17derivative_y2_pbcPKfPfjjj
                                        ; -- End function
	.set _Z17derivative_y2_pbcPKfPfjjj.num_vgpr, 9
	.set _Z17derivative_y2_pbcPKfPfjjj.num_agpr, 0
	.set _Z17derivative_y2_pbcPKfPfjjj.numbered_sgpr, 16
	.set _Z17derivative_y2_pbcPKfPfjjj.num_named_barrier, 0
	.set _Z17derivative_y2_pbcPKfPfjjj.private_seg_size, 0
	.set _Z17derivative_y2_pbcPKfPfjjj.uses_vcc, 1
	.set _Z17derivative_y2_pbcPKfPfjjj.uses_flat_scratch, 0
	.set _Z17derivative_y2_pbcPKfPfjjj.has_dyn_sized_stack, 0
	.set _Z17derivative_y2_pbcPKfPfjjj.has_recursion, 0
	.set _Z17derivative_y2_pbcPKfPfjjj.has_indirect_call, 0
	.section	.AMDGPU.csdata,"",@progbits
; Kernel info:
; codeLenInByte = 336
; TotalNumSgprs: 20
; NumVgprs: 9
; ScratchSize: 0
; MemoryBound: 0
; FloatMode: 240
; IeeeMode: 1
; LDSByteSize: 0 bytes/workgroup (compile time only)
; SGPRBlocks: 2
; VGPRBlocks: 2
; NumSGPRsForWavesPerEU: 20
; NumVGPRsForWavesPerEU: 9
; Occupancy: 10
; WaveLimiterHint : 0
; COMPUTE_PGM_RSRC2:SCRATCH_EN: 0
; COMPUTE_PGM_RSRC2:USER_SGPR: 6
; COMPUTE_PGM_RSRC2:TRAP_HANDLER: 0
; COMPUTE_PGM_RSRC2:TGID_X_EN: 1
; COMPUTE_PGM_RSRC2:TGID_Y_EN: 1
; COMPUTE_PGM_RSRC2:TGID_Z_EN: 0
; COMPUTE_PGM_RSRC2:TIDIG_COMP_CNT: 1
	.text
	.protected	_Z22derivative_y2_zerofluxPKfPfjjj ; -- Begin function _Z22derivative_y2_zerofluxPKfPfjjj
	.globl	_Z22derivative_y2_zerofluxPKfPfjjj
	.p2align	8
	.type	_Z22derivative_y2_zerofluxPKfPfjjj,@function
_Z22derivative_y2_zerofluxPKfPfjjj:     ; @_Z22derivative_y2_zerofluxPKfPfjjj
; %bb.0:
	s_load_dwordx8 s[8:15], s[4:5], 0x0
	s_load_dword s0, s[4:5], 0x2c
	s_waitcnt lgkmcnt(0)
	s_mul_i32 s1, s13, s7
	v_add_u32_e32 v2, s1, v1
	v_mul_lo_u32 v2, v2, s12
	s_and_b32 s0, s0, 0xffff
	s_mul_i32 s6, s6, s0
	v_mov_b32_e32 v5, s9
	v_add3_u32 v2, v2, v0, s6
	v_ashrrev_i32_e32 v3, 31, v2
	v_lshlrev_b64 v[2:3], 2, v[2:3]
	v_add_co_u32_e32 v4, vcc, s8, v2
	v_addc_co_u32_e32 v5, vcc, v5, v3, vcc
	global_load_dword v4, v[4:5], off
	v_mul_lo_u32 v5, s14, v1
	v_cmp_ne_u32_e32 vcc, 0, v1
	v_lshl_add_u32 v7, v5, 2, 0
	v_lshl_add_u32 v6, v0, 2, v7
	s_waitcnt vmcnt(0)
	ds_write_b32 v6, v4
	s_waitcnt lgkmcnt(0)
	s_barrier
                                        ; implicit-def: $vgpr4
	s_and_saveexec_b64 s[0:1], vcc
	s_xor_b64 s[0:1], exec, s[0:1]
	s_cbranch_execz .LBB4_6
; %bb.1:
	ds_read_b32 v6, v6
	s_add_i32 s2, s13, -1
	v_cmp_ne_u32_e32 vcc, s2, v1
	v_lshlrev_b32_e32 v0, 2, v0
                                        ; implicit-def: $vgpr4
	s_and_saveexec_b64 s[2:3], vcc
	s_xor_b64 s[2:3], exec, s[2:3]
	s_cbranch_execz .LBB4_3
; %bb.2:
	s_lshl_b32 s4, s14, 2
	v_add_u32_e32 v1, s14, v5
	v_add3_u32 v4, v7, s4, v0
	s_lshl_b32 s4, s14, 1
	v_subrev_u32_e32 v1, s4, v1
	v_lshlrev_b32_e32 v1, 2, v1
	v_add3_u32 v0, 0, v1, v0
	ds_read_b32 v1, v4
	ds_read_b32 v0, v0
                                        ; implicit-def: $vgpr5
	s_waitcnt lgkmcnt(1)
	v_fmac_f32_e32 v1, -2.0, v6
	s_waitcnt lgkmcnt(0)
	v_add_f32_e32 v4, v0, v1
                                        ; implicit-def: $vgpr0
                                        ; implicit-def: $vgpr6
.LBB4_3:
	s_andn2_saveexec_b64 s[2:3], s[2:3]
	s_cbranch_execz .LBB4_5
; %bb.4:
	v_subrev_u32_e32 v1, s14, v5
	v_lshlrev_b32_e32 v1, 2, v1
	v_add3_u32 v0, 0, v1, v0
	ds_read_b32 v0, v0
	s_waitcnt lgkmcnt(0)
	v_sub_f32_e32 v4, v0, v6
.LBB4_5:
	s_or_b64 exec, exec, s[2:3]
                                        ; implicit-def: $vgpr0
                                        ; implicit-def: $vgpr6
.LBB4_6:
	s_andn2_saveexec_b64 s[0:1], s[0:1]
	s_cbranch_execz .LBB4_8
; %bb.7:
	s_lshl_b32 s2, s14, 2
	s_add_i32 s2, s2, 0
	v_lshl_add_u32 v0, v0, 2, s2
	ds_read_b32 v0, v0
	s_waitcnt lgkmcnt(1)
	ds_read_b32 v1, v6
	s_waitcnt lgkmcnt(0)
	v_sub_f32_e32 v4, v0, v1
.LBB4_8:
	s_or_b64 exec, exec, s[0:1]
	v_mov_b32_e32 v1, s11
	v_add_co_u32_e32 v0, vcc, s10, v2
	v_addc_co_u32_e32 v1, vcc, v1, v3, vcc
	global_store_dword v[0:1], v4, off
	s_endpgm
	.section	.rodata,"a",@progbits
	.p2align	6, 0x0
	.amdhsa_kernel _Z22derivative_y2_zerofluxPKfPfjjj
		.amdhsa_group_segment_fixed_size 0
		.amdhsa_private_segment_fixed_size 0
		.amdhsa_kernarg_size 288
		.amdhsa_user_sgpr_count 6
		.amdhsa_user_sgpr_private_segment_buffer 1
		.amdhsa_user_sgpr_dispatch_ptr 0
		.amdhsa_user_sgpr_queue_ptr 0
		.amdhsa_user_sgpr_kernarg_segment_ptr 1
		.amdhsa_user_sgpr_dispatch_id 0
		.amdhsa_user_sgpr_flat_scratch_init 0
		.amdhsa_user_sgpr_private_segment_size 0
		.amdhsa_uses_dynamic_stack 0
		.amdhsa_system_sgpr_private_segment_wavefront_offset 0
		.amdhsa_system_sgpr_workgroup_id_x 1
		.amdhsa_system_sgpr_workgroup_id_y 1
		.amdhsa_system_sgpr_workgroup_id_z 0
		.amdhsa_system_sgpr_workgroup_info 0
		.amdhsa_system_vgpr_workitem_id 1
		.amdhsa_next_free_vgpr 8
		.amdhsa_next_free_sgpr 16
		.amdhsa_reserve_vcc 1
		.amdhsa_reserve_flat_scratch 0
		.amdhsa_float_round_mode_32 0
		.amdhsa_float_round_mode_16_64 0
		.amdhsa_float_denorm_mode_32 3
		.amdhsa_float_denorm_mode_16_64 3
		.amdhsa_dx10_clamp 1
		.amdhsa_ieee_mode 1
		.amdhsa_fp16_overflow 0
		.amdhsa_exception_fp_ieee_invalid_op 0
		.amdhsa_exception_fp_denorm_src 0
		.amdhsa_exception_fp_ieee_div_zero 0
		.amdhsa_exception_fp_ieee_overflow 0
		.amdhsa_exception_fp_ieee_underflow 0
		.amdhsa_exception_fp_ieee_inexact 0
		.amdhsa_exception_int_div_zero 0
	.end_amdhsa_kernel
	.text
.Lfunc_end4:
	.size	_Z22derivative_y2_zerofluxPKfPfjjj, .Lfunc_end4-_Z22derivative_y2_zerofluxPKfPfjjj
                                        ; -- End function
	.set _Z22derivative_y2_zerofluxPKfPfjjj.num_vgpr, 8
	.set _Z22derivative_y2_zerofluxPKfPfjjj.num_agpr, 0
	.set _Z22derivative_y2_zerofluxPKfPfjjj.numbered_sgpr, 16
	.set _Z22derivative_y2_zerofluxPKfPfjjj.num_named_barrier, 0
	.set _Z22derivative_y2_zerofluxPKfPfjjj.private_seg_size, 0
	.set _Z22derivative_y2_zerofluxPKfPfjjj.uses_vcc, 1
	.set _Z22derivative_y2_zerofluxPKfPfjjj.uses_flat_scratch, 0
	.set _Z22derivative_y2_zerofluxPKfPfjjj.has_dyn_sized_stack, 0
	.set _Z22derivative_y2_zerofluxPKfPfjjj.has_recursion, 0
	.set _Z22derivative_y2_zerofluxPKfPfjjj.has_indirect_call, 0
	.section	.AMDGPU.csdata,"",@progbits
; Kernel info:
; codeLenInByte = 372
; TotalNumSgprs: 20
; NumVgprs: 8
; ScratchSize: 0
; MemoryBound: 0
; FloatMode: 240
; IeeeMode: 1
; LDSByteSize: 0 bytes/workgroup (compile time only)
; SGPRBlocks: 2
; VGPRBlocks: 1
; NumSGPRsForWavesPerEU: 20
; NumVGPRsForWavesPerEU: 8
; Occupancy: 10
; WaveLimiterHint : 0
; COMPUTE_PGM_RSRC2:SCRATCH_EN: 0
; COMPUTE_PGM_RSRC2:USER_SGPR: 6
; COMPUTE_PGM_RSRC2:TRAP_HANDLER: 0
; COMPUTE_PGM_RSRC2:TGID_X_EN: 1
; COMPUTE_PGM_RSRC2:TGID_Y_EN: 1
; COMPUTE_PGM_RSRC2:TGID_Z_EN: 0
; COMPUTE_PGM_RSRC2:TIDIG_COMP_CNT: 1
	.text
	.protected	_Z17derivative_z2_pbcPKfPfjjjj ; -- Begin function _Z17derivative_z2_pbcPKfPfjjjj
	.globl	_Z17derivative_z2_pbcPKfPfjjjj
	.p2align	8
	.type	_Z17derivative_z2_pbcPKfPfjjjj,@function
_Z17derivative_z2_pbcPKfPfjjjj:         ; @_Z17derivative_z2_pbcPKfPfjjjj
; %bb.0:
	s_load_dwordx8 s[8:15], s[4:5], 0x0
	s_load_dword s0, s[4:5], 0x2c
	v_add_u32_e32 v6, 1, v1
	s_waitcnt lgkmcnt(0)
	v_mul_lo_u32 v2, s13, v1
	s_and_b32 s0, s0, 0xffff
	s_mul_i32 s6, s6, s0
	v_mov_b32_e32 v5, s9
	v_add_u32_e32 v2, s7, v2
	v_mul_lo_u32 v2, v2, s12
	v_add3_u32 v2, v2, v0, s6
	v_ashrrev_i32_e32 v3, 31, v2
	v_lshlrev_b64 v[2:3], 2, v[2:3]
	v_add_co_u32_e32 v4, vcc, s8, v2
	v_addc_co_u32_e32 v5, vcc, v5, v3, vcc
	global_load_dword v7, v[4:5], off
	v_mul_lo_u32 v4, s15, v6
	v_cmp_eq_u32_e32 vcc, 0, v1
	v_lshl_add_u32 v5, v4, 2, 0
	v_lshl_add_u32 v4, v0, 2, v5
	v_lshlrev_b32_e32 v0, 2, v0
	s_waitcnt vmcnt(0)
	ds_write_b32 v4, v7
	s_waitcnt lgkmcnt(0)
	s_barrier
	s_and_saveexec_b64 s[0:1], vcc
	s_cbranch_execz .LBB5_2
; %bb.1:
	s_mul_i32 s2, s15, s14
	s_lshl_b32 s2, s2, 2
	s_add_i32 s2, s2, 0
	v_add_u32_e32 v7, s2, v0
	ds_read_b32 v7, v7
	v_add_u32_e32 v8, 0, v0
	v_add_u32_e32 v6, s14, v6
	v_mul_lo_u32 v6, v6, s15
	s_waitcnt lgkmcnt(0)
	ds_write_b32 v8, v7
	ds_read_b32 v7, v4
	v_lshl_add_u32 v6, v6, 2, v8
	s_waitcnt lgkmcnt(0)
	ds_write_b32 v6, v7
.LBB5_2:
	s_or_b64 exec, exec, s[0:1]
	v_mul_lo_u32 v1, s15, v1
	s_lshl_b32 s0, s15, 2
	v_add3_u32 v5, v5, s0, v0
	s_waitcnt lgkmcnt(0)
	v_lshlrev_b32_e32 v1, 2, v1
	v_add3_u32 v0, 0, v1, v0
	s_barrier
	ds_read_b32 v1, v5
	ds_read_b32 v0, v0
	;; [unrolled: 1-line block ×3, first 2 shown]
	s_waitcnt lgkmcnt(0)
	v_fmac_f32_e32 v1, -2.0, v4
	v_add_f32_e32 v4, v0, v1
	v_mov_b32_e32 v1, s11
	v_add_co_u32_e32 v0, vcc, s10, v2
	v_addc_co_u32_e32 v1, vcc, v1, v3, vcc
	global_store_dword v[0:1], v4, off
	s_endpgm
	.section	.rodata,"a",@progbits
	.p2align	6, 0x0
	.amdhsa_kernel _Z17derivative_z2_pbcPKfPfjjjj
		.amdhsa_group_segment_fixed_size 0
		.amdhsa_private_segment_fixed_size 0
		.amdhsa_kernarg_size 288
		.amdhsa_user_sgpr_count 6
		.amdhsa_user_sgpr_private_segment_buffer 1
		.amdhsa_user_sgpr_dispatch_ptr 0
		.amdhsa_user_sgpr_queue_ptr 0
		.amdhsa_user_sgpr_kernarg_segment_ptr 1
		.amdhsa_user_sgpr_dispatch_id 0
		.amdhsa_user_sgpr_flat_scratch_init 0
		.amdhsa_user_sgpr_private_segment_size 0
		.amdhsa_uses_dynamic_stack 0
		.amdhsa_system_sgpr_private_segment_wavefront_offset 0
		.amdhsa_system_sgpr_workgroup_id_x 1
		.amdhsa_system_sgpr_workgroup_id_y 1
		.amdhsa_system_sgpr_workgroup_id_z 0
		.amdhsa_system_sgpr_workgroup_info 0
		.amdhsa_system_vgpr_workitem_id 1
		.amdhsa_next_free_vgpr 9
		.amdhsa_next_free_sgpr 16
		.amdhsa_reserve_vcc 1
		.amdhsa_reserve_flat_scratch 0
		.amdhsa_float_round_mode_32 0
		.amdhsa_float_round_mode_16_64 0
		.amdhsa_float_denorm_mode_32 3
		.amdhsa_float_denorm_mode_16_64 3
		.amdhsa_dx10_clamp 1
		.amdhsa_ieee_mode 1
		.amdhsa_fp16_overflow 0
		.amdhsa_exception_fp_ieee_invalid_op 0
		.amdhsa_exception_fp_denorm_src 0
		.amdhsa_exception_fp_ieee_div_zero 0
		.amdhsa_exception_fp_ieee_overflow 0
		.amdhsa_exception_fp_ieee_underflow 0
		.amdhsa_exception_fp_ieee_inexact 0
		.amdhsa_exception_int_div_zero 0
	.end_amdhsa_kernel
	.text
.Lfunc_end5:
	.size	_Z17derivative_z2_pbcPKfPfjjjj, .Lfunc_end5-_Z17derivative_z2_pbcPKfPfjjjj
                                        ; -- End function
	.set _Z17derivative_z2_pbcPKfPfjjjj.num_vgpr, 9
	.set _Z17derivative_z2_pbcPKfPfjjjj.num_agpr, 0
	.set _Z17derivative_z2_pbcPKfPfjjjj.numbered_sgpr, 16
	.set _Z17derivative_z2_pbcPKfPfjjjj.num_named_barrier, 0
	.set _Z17derivative_z2_pbcPKfPfjjjj.private_seg_size, 0
	.set _Z17derivative_z2_pbcPKfPfjjjj.uses_vcc, 1
	.set _Z17derivative_z2_pbcPKfPfjjjj.uses_flat_scratch, 0
	.set _Z17derivative_z2_pbcPKfPfjjjj.has_dyn_sized_stack, 0
	.set _Z17derivative_z2_pbcPKfPfjjjj.has_recursion, 0
	.set _Z17derivative_z2_pbcPKfPfjjjj.has_indirect_call, 0
	.section	.AMDGPU.csdata,"",@progbits
; Kernel info:
; codeLenInByte = 340
; TotalNumSgprs: 20
; NumVgprs: 9
; ScratchSize: 0
; MemoryBound: 0
; FloatMode: 240
; IeeeMode: 1
; LDSByteSize: 0 bytes/workgroup (compile time only)
; SGPRBlocks: 2
; VGPRBlocks: 2
; NumSGPRsForWavesPerEU: 20
; NumVGPRsForWavesPerEU: 9
; Occupancy: 10
; WaveLimiterHint : 0
; COMPUTE_PGM_RSRC2:SCRATCH_EN: 0
; COMPUTE_PGM_RSRC2:USER_SGPR: 6
; COMPUTE_PGM_RSRC2:TRAP_HANDLER: 0
; COMPUTE_PGM_RSRC2:TGID_X_EN: 1
; COMPUTE_PGM_RSRC2:TGID_Y_EN: 1
; COMPUTE_PGM_RSRC2:TGID_Z_EN: 0
; COMPUTE_PGM_RSRC2:TIDIG_COMP_CNT: 1
	.text
	.protected	_Z22derivative_z2_zerofluxPKfPfjjjj ; -- Begin function _Z22derivative_z2_zerofluxPKfPfjjjj
	.globl	_Z22derivative_z2_zerofluxPKfPfjjjj
	.p2align	8
	.type	_Z22derivative_z2_zerofluxPKfPfjjjj,@function
_Z22derivative_z2_zerofluxPKfPfjjjj:    ; @_Z22derivative_z2_zerofluxPKfPfjjjj
; %bb.0:
	s_load_dwordx8 s[8:15], s[4:5], 0x0
	s_load_dword s0, s[4:5], 0x2c
	s_waitcnt lgkmcnt(0)
	v_mul_lo_u32 v2, s13, v1
	s_and_b32 s0, s0, 0xffff
	s_mul_i32 s6, s6, s0
	v_mov_b32_e32 v5, s9
	v_add_u32_e32 v2, s7, v2
	v_mul_lo_u32 v2, v2, s12
	v_add3_u32 v2, v2, v0, s6
	v_ashrrev_i32_e32 v3, 31, v2
	v_lshlrev_b64 v[2:3], 2, v[2:3]
	v_add_co_u32_e32 v4, vcc, s8, v2
	v_addc_co_u32_e32 v5, vcc, v5, v3, vcc
	global_load_dword v4, v[4:5], off
	v_mul_lo_u32 v5, s15, v1
	v_cmp_ne_u32_e32 vcc, 0, v1
	v_lshl_add_u32 v7, v5, 2, 0
	v_lshl_add_u32 v6, v0, 2, v7
	s_waitcnt vmcnt(0)
	ds_write_b32 v6, v4
	s_waitcnt lgkmcnt(0)
	s_barrier
                                        ; implicit-def: $vgpr4
	s_and_saveexec_b64 s[0:1], vcc
	s_xor_b64 s[0:1], exec, s[0:1]
	s_cbranch_execz .LBB6_6
; %bb.1:
	ds_read_b32 v6, v6
	s_add_i32 s2, s14, -1
	v_cmp_ne_u32_e32 vcc, s2, v1
	v_lshlrev_b32_e32 v0, 2, v0
                                        ; implicit-def: $vgpr4
	s_and_saveexec_b64 s[2:3], vcc
	s_xor_b64 s[2:3], exec, s[2:3]
	s_cbranch_execz .LBB6_3
; %bb.2:
	s_lshl_b32 s4, s15, 2
	v_add_u32_e32 v1, s15, v5
	v_add3_u32 v4, v7, s4, v0
	s_lshl_b32 s4, s15, 1
	v_subrev_u32_e32 v1, s4, v1
	v_lshlrev_b32_e32 v1, 2, v1
	v_add3_u32 v0, 0, v1, v0
	ds_read_b32 v1, v4
	ds_read_b32 v0, v0
                                        ; implicit-def: $vgpr5
	s_waitcnt lgkmcnt(1)
	v_fmac_f32_e32 v1, -2.0, v6
	s_waitcnt lgkmcnt(0)
	v_add_f32_e32 v4, v0, v1
                                        ; implicit-def: $vgpr0
                                        ; implicit-def: $vgpr6
.LBB6_3:
	s_andn2_saveexec_b64 s[2:3], s[2:3]
	s_cbranch_execz .LBB6_5
; %bb.4:
	v_subrev_u32_e32 v1, s15, v5
	v_lshlrev_b32_e32 v1, 2, v1
	v_add3_u32 v0, 0, v1, v0
	ds_read_b32 v0, v0
	s_waitcnt lgkmcnt(0)
	v_sub_f32_e32 v4, v0, v6
.LBB6_5:
	s_or_b64 exec, exec, s[2:3]
                                        ; implicit-def: $vgpr0
                                        ; implicit-def: $vgpr6
.LBB6_6:
	s_andn2_saveexec_b64 s[0:1], s[0:1]
	s_cbranch_execz .LBB6_8
; %bb.7:
	s_lshl_b32 s2, s15, 2
	s_add_i32 s2, s2, 0
	v_lshl_add_u32 v0, v0, 2, s2
	ds_read_b32 v0, v0
	s_waitcnt lgkmcnt(1)
	ds_read_b32 v1, v6
	s_waitcnt lgkmcnt(0)
	v_sub_f32_e32 v4, v0, v1
.LBB6_8:
	s_or_b64 exec, exec, s[0:1]
	v_mov_b32_e32 v1, s11
	v_add_co_u32_e32 v0, vcc, s10, v2
	v_addc_co_u32_e32 v1, vcc, v1, v3, vcc
	global_store_dword v[0:1], v4, off
	s_endpgm
	.section	.rodata,"a",@progbits
	.p2align	6, 0x0
	.amdhsa_kernel _Z22derivative_z2_zerofluxPKfPfjjjj
		.amdhsa_group_segment_fixed_size 0
		.amdhsa_private_segment_fixed_size 0
		.amdhsa_kernarg_size 288
		.amdhsa_user_sgpr_count 6
		.amdhsa_user_sgpr_private_segment_buffer 1
		.amdhsa_user_sgpr_dispatch_ptr 0
		.amdhsa_user_sgpr_queue_ptr 0
		.amdhsa_user_sgpr_kernarg_segment_ptr 1
		.amdhsa_user_sgpr_dispatch_id 0
		.amdhsa_user_sgpr_flat_scratch_init 0
		.amdhsa_user_sgpr_private_segment_size 0
		.amdhsa_uses_dynamic_stack 0
		.amdhsa_system_sgpr_private_segment_wavefront_offset 0
		.amdhsa_system_sgpr_workgroup_id_x 1
		.amdhsa_system_sgpr_workgroup_id_y 1
		.amdhsa_system_sgpr_workgroup_id_z 0
		.amdhsa_system_sgpr_workgroup_info 0
		.amdhsa_system_vgpr_workitem_id 1
		.amdhsa_next_free_vgpr 8
		.amdhsa_next_free_sgpr 16
		.amdhsa_reserve_vcc 1
		.amdhsa_reserve_flat_scratch 0
		.amdhsa_float_round_mode_32 0
		.amdhsa_float_round_mode_16_64 0
		.amdhsa_float_denorm_mode_32 3
		.amdhsa_float_denorm_mode_16_64 3
		.amdhsa_dx10_clamp 1
		.amdhsa_ieee_mode 1
		.amdhsa_fp16_overflow 0
		.amdhsa_exception_fp_ieee_invalid_op 0
		.amdhsa_exception_fp_denorm_src 0
		.amdhsa_exception_fp_ieee_div_zero 0
		.amdhsa_exception_fp_ieee_overflow 0
		.amdhsa_exception_fp_ieee_underflow 0
		.amdhsa_exception_fp_ieee_inexact 0
		.amdhsa_exception_int_div_zero 0
	.end_amdhsa_kernel
	.text
.Lfunc_end6:
	.size	_Z22derivative_z2_zerofluxPKfPfjjjj, .Lfunc_end6-_Z22derivative_z2_zerofluxPKfPfjjjj
                                        ; -- End function
	.set _Z22derivative_z2_zerofluxPKfPfjjjj.num_vgpr, 8
	.set _Z22derivative_z2_zerofluxPKfPfjjjj.num_agpr, 0
	.set _Z22derivative_z2_zerofluxPKfPfjjjj.numbered_sgpr, 16
	.set _Z22derivative_z2_zerofluxPKfPfjjjj.num_named_barrier, 0
	.set _Z22derivative_z2_zerofluxPKfPfjjjj.private_seg_size, 0
	.set _Z22derivative_z2_zerofluxPKfPfjjjj.uses_vcc, 1
	.set _Z22derivative_z2_zerofluxPKfPfjjjj.uses_flat_scratch, 0
	.set _Z22derivative_z2_zerofluxPKfPfjjjj.has_dyn_sized_stack, 0
	.set _Z22derivative_z2_zerofluxPKfPfjjjj.has_recursion, 0
	.set _Z22derivative_z2_zerofluxPKfPfjjjj.has_indirect_call, 0
	.section	.AMDGPU.csdata,"",@progbits
; Kernel info:
; codeLenInByte = 376
; TotalNumSgprs: 20
; NumVgprs: 8
; ScratchSize: 0
; MemoryBound: 0
; FloatMode: 240
; IeeeMode: 1
; LDSByteSize: 0 bytes/workgroup (compile time only)
; SGPRBlocks: 2
; VGPRBlocks: 1
; NumSGPRsForWavesPerEU: 20
; NumVGPRsForWavesPerEU: 8
; Occupancy: 10
; WaveLimiterHint : 0
; COMPUTE_PGM_RSRC2:SCRATCH_EN: 0
; COMPUTE_PGM_RSRC2:USER_SGPR: 6
; COMPUTE_PGM_RSRC2:TRAP_HANDLER: 0
; COMPUTE_PGM_RSRC2:TGID_X_EN: 1
; COMPUTE_PGM_RSRC2:TGID_Y_EN: 1
; COMPUTE_PGM_RSRC2:TGID_Z_EN: 0
; COMPUTE_PGM_RSRC2:TIDIG_COMP_CNT: 1
	.text
	.protected	_Z19construct_laplacianPfPKfS1_S1_jf ; -- Begin function _Z19construct_laplacianPfPKfS1_S1_jf
	.globl	_Z19construct_laplacianPfPKfS1_S1_jf
	.p2align	8
	.type	_Z19construct_laplacianPfPKfS1_S1_jf,@function
_Z19construct_laplacianPfPKfS1_S1_jf:   ; @_Z19construct_laplacianPfPKfS1_S1_jf
; %bb.0:
	s_load_dword s7, s[4:5], 0x34
	s_load_dwordx2 s[0:1], s[4:5], 0x20
	s_add_u32 s2, s4, 40
	s_addc_u32 s3, s5, 0
	s_waitcnt lgkmcnt(0)
	s_and_b32 s7, s7, 0xffff
	s_mul_i32 s6, s6, s7
	v_add_u32_e32 v0, s6, v0
	v_cmp_gt_u32_e32 vcc, s0, v0
	s_and_saveexec_b64 s[8:9], vcc
	s_cbranch_execz .LBB7_3
; %bb.1:
	s_load_dword s6, s[2:3], 0x0
	s_load_dwordx8 s[8:15], s[4:5], 0x0
	v_ashrrev_i32_e32 v1, 31, v0
	v_lshlrev_b64 v[1:2], 2, v[0:1]
	s_mov_b64 s[2:3], 0
	s_waitcnt lgkmcnt(0)
	s_mul_i32 s4, s6, s7
	s_ashr_i32 s5, s4, 31
	s_lshl_b64 s[6:7], s[4:5], 2
	v_mov_b32_e32 v3, s11
	v_mov_b32_e32 v4, s13
	;; [unrolled: 1-line block ×5, first 2 shown]
.LBB7_2:                                ; =>This Inner Loop Header: Depth=1
	v_add_co_u32_e32 v8, vcc, s10, v1
	v_addc_co_u32_e32 v9, vcc, v3, v2, vcc
	v_add_co_u32_e32 v10, vcc, s12, v1
	v_addc_co_u32_e32 v11, vcc, v4, v2, vcc
	;; [unrolled: 2-line block ×3, first 2 shown]
	global_load_dword v14, v[8:9], off
	global_load_dword v15, v[10:11], off
	;; [unrolled: 1-line block ×3, first 2 shown]
	v_add_co_u32_e32 v8, vcc, s8, v1
	v_addc_co_u32_e32 v9, vcc, v6, v2, vcc
	v_add_co_u32_e32 v1, vcc, s6, v1
	v_add_u32_e32 v0, s4, v0
	v_addc_co_u32_e32 v2, vcc, v2, v7, vcc
	v_cmp_le_u32_e32 vcc, s0, v0
	s_or_b64 s[2:3], vcc, s[2:3]
	s_waitcnt vmcnt(1)
	v_add_f32_e32 v10, v14, v15
	s_waitcnt vmcnt(0)
	v_add_f32_e32 v10, v10, v16
	v_mul_f32_e32 v10, s1, v10
	global_store_dword v[8:9], v10, off
	s_andn2_b64 exec, exec, s[2:3]
	s_cbranch_execnz .LBB7_2
.LBB7_3:
	s_endpgm
	.section	.rodata,"a",@progbits
	.p2align	6, 0x0
	.amdhsa_kernel _Z19construct_laplacianPfPKfS1_S1_jf
		.amdhsa_group_segment_fixed_size 0
		.amdhsa_private_segment_fixed_size 0
		.amdhsa_kernarg_size 296
		.amdhsa_user_sgpr_count 6
		.amdhsa_user_sgpr_private_segment_buffer 1
		.amdhsa_user_sgpr_dispatch_ptr 0
		.amdhsa_user_sgpr_queue_ptr 0
		.amdhsa_user_sgpr_kernarg_segment_ptr 1
		.amdhsa_user_sgpr_dispatch_id 0
		.amdhsa_user_sgpr_flat_scratch_init 0
		.amdhsa_user_sgpr_private_segment_size 0
		.amdhsa_uses_dynamic_stack 0
		.amdhsa_system_sgpr_private_segment_wavefront_offset 0
		.amdhsa_system_sgpr_workgroup_id_x 1
		.amdhsa_system_sgpr_workgroup_id_y 0
		.amdhsa_system_sgpr_workgroup_id_z 0
		.amdhsa_system_sgpr_workgroup_info 0
		.amdhsa_system_vgpr_workitem_id 0
		.amdhsa_next_free_vgpr 17
		.amdhsa_next_free_sgpr 16
		.amdhsa_reserve_vcc 1
		.amdhsa_reserve_flat_scratch 0
		.amdhsa_float_round_mode_32 0
		.amdhsa_float_round_mode_16_64 0
		.amdhsa_float_denorm_mode_32 3
		.amdhsa_float_denorm_mode_16_64 3
		.amdhsa_dx10_clamp 1
		.amdhsa_ieee_mode 1
		.amdhsa_fp16_overflow 0
		.amdhsa_exception_fp_ieee_invalid_op 0
		.amdhsa_exception_fp_denorm_src 0
		.amdhsa_exception_fp_ieee_div_zero 0
		.amdhsa_exception_fp_ieee_overflow 0
		.amdhsa_exception_fp_ieee_underflow 0
		.amdhsa_exception_fp_ieee_inexact 0
		.amdhsa_exception_int_div_zero 0
	.end_amdhsa_kernel
	.text
.Lfunc_end7:
	.size	_Z19construct_laplacianPfPKfS1_S1_jf, .Lfunc_end7-_Z19construct_laplacianPfPKfS1_S1_jf
                                        ; -- End function
	.set _Z19construct_laplacianPfPKfS1_S1_jf.num_vgpr, 17
	.set _Z19construct_laplacianPfPKfS1_S1_jf.num_agpr, 0
	.set _Z19construct_laplacianPfPKfS1_S1_jf.numbered_sgpr, 16
	.set _Z19construct_laplacianPfPKfS1_S1_jf.num_named_barrier, 0
	.set _Z19construct_laplacianPfPKfS1_S1_jf.private_seg_size, 0
	.set _Z19construct_laplacianPfPKfS1_S1_jf.uses_vcc, 1
	.set _Z19construct_laplacianPfPKfS1_S1_jf.uses_flat_scratch, 0
	.set _Z19construct_laplacianPfPKfS1_S1_jf.has_dyn_sized_stack, 0
	.set _Z19construct_laplacianPfPKfS1_S1_jf.has_recursion, 0
	.set _Z19construct_laplacianPfPKfS1_S1_jf.has_indirect_call, 0
	.section	.AMDGPU.csdata,"",@progbits
; Kernel info:
; codeLenInByte = 240
; TotalNumSgprs: 20
; NumVgprs: 17
; ScratchSize: 0
; MemoryBound: 0
; FloatMode: 240
; IeeeMode: 1
; LDSByteSize: 0 bytes/workgroup (compile time only)
; SGPRBlocks: 2
; VGPRBlocks: 4
; NumSGPRsForWavesPerEU: 20
; NumVGPRsForWavesPerEU: 17
; Occupancy: 10
; WaveLimiterHint : 0
; COMPUTE_PGM_RSRC2:SCRATCH_EN: 0
; COMPUTE_PGM_RSRC2:USER_SGPR: 6
; COMPUTE_PGM_RSRC2:TRAP_HANDLER: 0
; COMPUTE_PGM_RSRC2:TGID_X_EN: 1
; COMPUTE_PGM_RSRC2:TGID_Y_EN: 0
; COMPUTE_PGM_RSRC2:TGID_Z_EN: 0
; COMPUTE_PGM_RSRC2:TIDIG_COMP_CNT: 0
	.text
	.protected	_Z6updatePfS_PKfS1_S1_S1_jf ; -- Begin function _Z6updatePfS_PKfS1_S1_S1_jf
	.globl	_Z6updatePfS_PKfS1_S1_S1_jf
	.p2align	8
	.type	_Z6updatePfS_PKfS1_S1_S1_jf,@function
_Z6updatePfS_PKfS1_S1_S1_jf:            ; @_Z6updatePfS_PKfS1_S1_S1_jf
; %bb.0:
	s_load_dword s0, s[4:5], 0x44
	s_load_dwordx2 s[16:17], s[4:5], 0x30
	s_add_u32 s18, s4, 56
	s_addc_u32 s19, s5, 0
	s_waitcnt lgkmcnt(0)
	s_and_b32 s7, s0, 0xffff
	s_mul_i32 s6, s6, s7
	v_add_u32_e32 v0, s6, v0
	v_cmp_gt_u32_e32 vcc, s16, v0
	s_and_saveexec_b64 s[0:1], vcc
	s_cbranch_execz .LBB8_3
; %bb.1:
	s_load_dword s6, s[18:19], 0x0
	s_load_dwordx8 s[8:15], s[4:5], 0x0
	s_load_dwordx4 s[0:3], s[4:5], 0x20
	v_ashrrev_i32_e32 v1, 31, v0
	v_lshlrev_b64 v[1:2], 2, v[0:1]
	s_waitcnt lgkmcnt(0)
	s_mul_i32 s4, s6, s7
	s_ashr_i32 s5, s4, 31
	s_lshl_b64 s[6:7], s[4:5], 2
	s_mov_b64 s[18:19], 0
	v_mov_b32_e32 v3, s13
	v_mov_b32_e32 v4, s1
	;; [unrolled: 1-line block ×7, first 2 shown]
.LBB8_2:                                ; =>This Inner Loop Header: Depth=1
	v_add_co_u32_e32 v10, vcc, s12, v1
	v_addc_co_u32_e32 v11, vcc, v3, v2, vcc
	v_add_co_u32_e32 v12, vcc, s0, v1
	v_addc_co_u32_e32 v13, vcc, v4, v2, vcc
	;; [unrolled: 2-line block ×4, first 2 shown]
	global_load_dword v18, v[10:11], off
	v_add_co_u32_e32 v10, vcc, s2, v1
	v_addc_co_u32_e32 v11, vcc, v7, v2, vcc
	global_load_dword v19, v[12:13], off
	global_load_dword v20, v[16:17], off
	v_add_co_u32_e32 v12, vcc, s10, v1
	v_addc_co_u32_e32 v13, vcc, v8, v2, vcc
	global_load_dword v16, v[10:11], off
	global_load_dword v17, v[14:15], off
	v_add_co_u32_e32 v1, vcc, s6, v1
	global_load_dword v11, v[12:13], off
	v_add_u32_e32 v0, s4, v0
	v_addc_co_u32_e32 v2, vcc, v2, v9, vcc
	v_cmp_le_u32_e32 vcc, s16, v0
	s_or_b64 s[18:19], vcc, s[18:19]
	s_waitcnt vmcnt(4)
	v_add_f32_e32 v10, v18, v19
	s_waitcnt vmcnt(2)
	v_add_f32_e32 v16, v20, v16
	s_waitcnt vmcnt(1)
	v_fmac_f32_e32 v17, s17, v10
	s_waitcnt vmcnt(0)
	v_fmac_f32_e32 v11, s17, v16
	global_store_dword v[14:15], v17, off
	global_store_dword v[12:13], v11, off
	s_andn2_b64 exec, exec, s[18:19]
	s_cbranch_execnz .LBB8_2
.LBB8_3:
	s_endpgm
	.section	.rodata,"a",@progbits
	.p2align	6, 0x0
	.amdhsa_kernel _Z6updatePfS_PKfS1_S1_S1_jf
		.amdhsa_group_segment_fixed_size 0
		.amdhsa_private_segment_fixed_size 0
		.amdhsa_kernarg_size 312
		.amdhsa_user_sgpr_count 6
		.amdhsa_user_sgpr_private_segment_buffer 1
		.amdhsa_user_sgpr_dispatch_ptr 0
		.amdhsa_user_sgpr_queue_ptr 0
		.amdhsa_user_sgpr_kernarg_segment_ptr 1
		.amdhsa_user_sgpr_dispatch_id 0
		.amdhsa_user_sgpr_flat_scratch_init 0
		.amdhsa_user_sgpr_private_segment_size 0
		.amdhsa_uses_dynamic_stack 0
		.amdhsa_system_sgpr_private_segment_wavefront_offset 0
		.amdhsa_system_sgpr_workgroup_id_x 1
		.amdhsa_system_sgpr_workgroup_id_y 0
		.amdhsa_system_sgpr_workgroup_id_z 0
		.amdhsa_system_sgpr_workgroup_info 0
		.amdhsa_system_vgpr_workitem_id 0
		.amdhsa_next_free_vgpr 21
		.amdhsa_next_free_sgpr 20
		.amdhsa_reserve_vcc 1
		.amdhsa_reserve_flat_scratch 0
		.amdhsa_float_round_mode_32 0
		.amdhsa_float_round_mode_16_64 0
		.amdhsa_float_denorm_mode_32 3
		.amdhsa_float_denorm_mode_16_64 3
		.amdhsa_dx10_clamp 1
		.amdhsa_ieee_mode 1
		.amdhsa_fp16_overflow 0
		.amdhsa_exception_fp_ieee_invalid_op 0
		.amdhsa_exception_fp_denorm_src 0
		.amdhsa_exception_fp_ieee_div_zero 0
		.amdhsa_exception_fp_ieee_overflow 0
		.amdhsa_exception_fp_ieee_underflow 0
		.amdhsa_exception_fp_ieee_inexact 0
		.amdhsa_exception_int_div_zero 0
	.end_amdhsa_kernel
	.text
.Lfunc_end8:
	.size	_Z6updatePfS_PKfS1_S1_S1_jf, .Lfunc_end8-_Z6updatePfS_PKfS1_S1_S1_jf
                                        ; -- End function
	.set _Z6updatePfS_PKfS1_S1_S1_jf.num_vgpr, 21
	.set _Z6updatePfS_PKfS1_S1_S1_jf.num_agpr, 0
	.set _Z6updatePfS_PKfS1_S1_S1_jf.numbered_sgpr, 20
	.set _Z6updatePfS_PKfS1_S1_S1_jf.num_named_barrier, 0
	.set _Z6updatePfS_PKfS1_S1_S1_jf.private_seg_size, 0
	.set _Z6updatePfS_PKfS1_S1_S1_jf.uses_vcc, 1
	.set _Z6updatePfS_PKfS1_S1_S1_jf.uses_flat_scratch, 0
	.set _Z6updatePfS_PKfS1_S1_S1_jf.has_dyn_sized_stack, 0
	.set _Z6updatePfS_PKfS1_S1_S1_jf.has_recursion, 0
	.set _Z6updatePfS_PKfS1_S1_S1_jf.has_indirect_call, 0
	.section	.AMDGPU.csdata,"",@progbits
; Kernel info:
; codeLenInByte = 316
; TotalNumSgprs: 24
; NumVgprs: 21
; ScratchSize: 0
; MemoryBound: 0
; FloatMode: 240
; IeeeMode: 1
; LDSByteSize: 0 bytes/workgroup (compile time only)
; SGPRBlocks: 2
; VGPRBlocks: 5
; NumSGPRsForWavesPerEU: 24
; NumVGPRsForWavesPerEU: 21
; Occupancy: 10
; WaveLimiterHint : 0
; COMPUTE_PGM_RSRC2:SCRATCH_EN: 0
; COMPUTE_PGM_RSRC2:USER_SGPR: 6
; COMPUTE_PGM_RSRC2:TRAP_HANDLER: 0
; COMPUTE_PGM_RSRC2:TGID_X_EN: 1
; COMPUTE_PGM_RSRC2:TGID_Y_EN: 0
; COMPUTE_PGM_RSRC2:TGID_Z_EN: 0
; COMPUTE_PGM_RSRC2:TIDIG_COMP_CNT: 0
	.section	.AMDGPU.gpr_maximums,"",@progbits
	.set amdgpu.max_num_vgpr, 0
	.set amdgpu.max_num_agpr, 0
	.set amdgpu.max_num_sgpr, 0
	.section	.AMDGPU.csdata,"",@progbits
	.type	__hip_cuid_7e9b5a69e7c76be2,@object ; @__hip_cuid_7e9b5a69e7c76be2
	.section	.bss,"aw",@nobits
	.globl	__hip_cuid_7e9b5a69e7c76be2
__hip_cuid_7e9b5a69e7c76be2:
	.byte	0                               ; 0x0
	.size	__hip_cuid_7e9b5a69e7c76be2, 1

	.ident	"AMD clang version 22.0.0git (https://github.com/RadeonOpenCompute/llvm-project roc-7.2.4 26084 f58b06dce1f9c15707c5f808fd002e18c2accf7e)"
	.section	".note.GNU-stack","",@progbits
	.addrsig
	.addrsig_sym __hip_cuid_7e9b5a69e7c76be2
	.amdgpu_metadata
---
amdhsa.kernels:
  - .args:
      - .actual_access:  read_only
        .address_space:  global
        .offset:         0
        .size:           8
        .value_kind:     global_buffer
      - .actual_access:  read_only
        .address_space:  global
        .offset:         8
        .size:           8
        .value_kind:     global_buffer
      - .actual_access:  write_only
        .address_space:  global
        .offset:         16
        .size:           8
        .value_kind:     global_buffer
      - .actual_access:  write_only
        .address_space:  global
        .offset:         24
        .size:           8
        .value_kind:     global_buffer
      - .offset:         32
        .size:           4
        .value_kind:     by_value
      - .offset:         36
        .size:           4
        .value_kind:     by_value
      - .offset:         40
        .size:           4
        .value_kind:     by_value
      - .offset:         48
        .size:           4
        .value_kind:     hidden_block_count_x
      - .offset:         52
        .size:           4
        .value_kind:     hidden_block_count_y
      - .offset:         56
        .size:           4
        .value_kind:     hidden_block_count_z
      - .offset:         60
        .size:           2
        .value_kind:     hidden_group_size_x
      - .offset:         62
        .size:           2
        .value_kind:     hidden_group_size_y
      - .offset:         64
        .size:           2
        .value_kind:     hidden_group_size_z
      - .offset:         66
        .size:           2
        .value_kind:     hidden_remainder_x
      - .offset:         68
        .size:           2
        .value_kind:     hidden_remainder_y
      - .offset:         70
        .size:           2
        .value_kind:     hidden_remainder_z
      - .offset:         88
        .size:           8
        .value_kind:     hidden_global_offset_x
      - .offset:         96
        .size:           8
        .value_kind:     hidden_global_offset_y
      - .offset:         104
        .size:           8
        .value_kind:     hidden_global_offset_z
      - .offset:         112
        .size:           2
        .value_kind:     hidden_grid_dims
    .group_segment_fixed_size: 0
    .kernarg_segment_align: 8
    .kernarg_segment_size: 304
    .language:       OpenCL C
    .language_version:
      - 2
      - 0
    .max_flat_workgroup_size: 1024
    .name:           _Z19reaction_gray_scottPKfS0_PfS1_jff
    .private_segment_fixed_size: 0
    .sgpr_count:     22
    .sgpr_spill_count: 0
    .symbol:         _Z19reaction_gray_scottPKfS0_PfS1_jff.kd
    .uniform_work_group_size: 1
    .uses_dynamic_stack: false
    .vgpr_count:     16
    .vgpr_spill_count: 0
    .wavefront_size: 64
  - .args:
      - .actual_access:  read_only
        .address_space:  global
        .offset:         0
        .size:           8
        .value_kind:     global_buffer
      - .actual_access:  write_only
        .address_space:  global
        .offset:         8
        .size:           8
        .value_kind:     global_buffer
      - .offset:         16
        .size:           4
        .value_kind:     by_value
      - .offset:         20
        .size:           4
        .value_kind:     by_value
      - .offset:         24
        .size:           4
        .value_kind:     by_value
      - .offset:         32
        .size:           4
        .value_kind:     hidden_block_count_x
      - .offset:         36
        .size:           4
        .value_kind:     hidden_block_count_y
      - .offset:         40
        .size:           4
        .value_kind:     hidden_block_count_z
      - .offset:         44
        .size:           2
        .value_kind:     hidden_group_size_x
      - .offset:         46
        .size:           2
        .value_kind:     hidden_group_size_y
      - .offset:         48
        .size:           2
        .value_kind:     hidden_group_size_z
      - .offset:         50
        .size:           2
        .value_kind:     hidden_remainder_x
      - .offset:         52
        .size:           2
        .value_kind:     hidden_remainder_y
      - .offset:         54
        .size:           2
        .value_kind:     hidden_remainder_z
      - .offset:         72
        .size:           8
        .value_kind:     hidden_global_offset_x
      - .offset:         80
        .size:           8
        .value_kind:     hidden_global_offset_y
      - .offset:         88
        .size:           8
        .value_kind:     hidden_global_offset_z
      - .offset:         96
        .size:           2
        .value_kind:     hidden_grid_dims
      - .offset:         152
        .size:           4
        .value_kind:     hidden_dynamic_lds_size
    .group_segment_fixed_size: 0
    .kernarg_segment_align: 8
    .kernarg_segment_size: 288
    .language:       OpenCL C
    .language_version:
      - 2
      - 0
    .max_flat_workgroup_size: 1024
    .name:           _Z17derivative_x2_pbcPKfPfjjj
    .private_segment_fixed_size: 0
    .sgpr_count:     14
    .sgpr_spill_count: 0
    .symbol:         _Z17derivative_x2_pbcPKfPfjjj.kd
    .uniform_work_group_size: 1
    .uses_dynamic_stack: false
    .vgpr_count:     8
    .vgpr_spill_count: 0
    .wavefront_size: 64
  - .args:
      - .actual_access:  read_only
        .address_space:  global
        .offset:         0
        .size:           8
        .value_kind:     global_buffer
      - .actual_access:  write_only
        .address_space:  global
        .offset:         8
        .size:           8
        .value_kind:     global_buffer
      - .offset:         16
        .size:           4
        .value_kind:     by_value
      - .offset:         20
        .size:           4
        .value_kind:     by_value
      - .offset:         24
        .size:           4
        .value_kind:     hidden_block_count_x
      - .offset:         28
        .size:           4
        .value_kind:     hidden_block_count_y
      - .offset:         32
        .size:           4
        .value_kind:     hidden_block_count_z
      - .offset:         36
        .size:           2
        .value_kind:     hidden_group_size_x
      - .offset:         38
        .size:           2
        .value_kind:     hidden_group_size_y
      - .offset:         40
        .size:           2
        .value_kind:     hidden_group_size_z
      - .offset:         42
        .size:           2
        .value_kind:     hidden_remainder_x
      - .offset:         44
        .size:           2
        .value_kind:     hidden_remainder_y
      - .offset:         46
        .size:           2
        .value_kind:     hidden_remainder_z
      - .offset:         64
        .size:           8
        .value_kind:     hidden_global_offset_x
      - .offset:         72
        .size:           8
        .value_kind:     hidden_global_offset_y
      - .offset:         80
        .size:           8
        .value_kind:     hidden_global_offset_z
      - .offset:         88
        .size:           2
        .value_kind:     hidden_grid_dims
      - .offset:         144
        .size:           4
        .value_kind:     hidden_dynamic_lds_size
    .group_segment_fixed_size: 0
    .kernarg_segment_align: 8
    .kernarg_segment_size: 280
    .language:       OpenCL C
    .language_version:
      - 2
      - 0
    .max_flat_workgroup_size: 1024
    .name:           _Z22derivative_x2_zerofluxPKfPfjj
    .private_segment_fixed_size: 0
    .sgpr_count:     14
    .sgpr_spill_count: 0
    .symbol:         _Z22derivative_x2_zerofluxPKfPfjj.kd
    .uniform_work_group_size: 1
    .uses_dynamic_stack: false
    .vgpr_count:     6
    .vgpr_spill_count: 0
    .wavefront_size: 64
  - .args:
      - .actual_access:  read_only
        .address_space:  global
        .offset:         0
        .size:           8
        .value_kind:     global_buffer
      - .actual_access:  write_only
        .address_space:  global
        .offset:         8
        .size:           8
        .value_kind:     global_buffer
      - .offset:         16
        .size:           4
        .value_kind:     by_value
      - .offset:         20
        .size:           4
        .value_kind:     by_value
      - .offset:         24
        .size:           4
        .value_kind:     by_value
      - .offset:         32
        .size:           4
        .value_kind:     hidden_block_count_x
      - .offset:         36
        .size:           4
        .value_kind:     hidden_block_count_y
      - .offset:         40
        .size:           4
        .value_kind:     hidden_block_count_z
      - .offset:         44
        .size:           2
        .value_kind:     hidden_group_size_x
      - .offset:         46
        .size:           2
        .value_kind:     hidden_group_size_y
      - .offset:         48
        .size:           2
        .value_kind:     hidden_group_size_z
      - .offset:         50
        .size:           2
        .value_kind:     hidden_remainder_x
      - .offset:         52
        .size:           2
        .value_kind:     hidden_remainder_y
      - .offset:         54
        .size:           2
        .value_kind:     hidden_remainder_z
      - .offset:         72
        .size:           8
        .value_kind:     hidden_global_offset_x
      - .offset:         80
        .size:           8
        .value_kind:     hidden_global_offset_y
      - .offset:         88
        .size:           8
        .value_kind:     hidden_global_offset_z
      - .offset:         96
        .size:           2
        .value_kind:     hidden_grid_dims
      - .offset:         152
        .size:           4
        .value_kind:     hidden_dynamic_lds_size
    .group_segment_fixed_size: 0
    .kernarg_segment_align: 8
    .kernarg_segment_size: 288
    .language:       OpenCL C
    .language_version:
      - 2
      - 0
    .max_flat_workgroup_size: 1024
    .name:           _Z17derivative_y2_pbcPKfPfjjj
    .private_segment_fixed_size: 0
    .sgpr_count:     20
    .sgpr_spill_count: 0
    .symbol:         _Z17derivative_y2_pbcPKfPfjjj.kd
    .uniform_work_group_size: 1
    .uses_dynamic_stack: false
    .vgpr_count:     9
    .vgpr_spill_count: 0
    .wavefront_size: 64
  - .args:
      - .actual_access:  read_only
        .address_space:  global
        .offset:         0
        .size:           8
        .value_kind:     global_buffer
      - .actual_access:  write_only
        .address_space:  global
        .offset:         8
        .size:           8
        .value_kind:     global_buffer
      - .offset:         16
        .size:           4
        .value_kind:     by_value
      - .offset:         20
        .size:           4
        .value_kind:     by_value
      - .offset:         24
        .size:           4
        .value_kind:     by_value
      - .offset:         32
        .size:           4
        .value_kind:     hidden_block_count_x
      - .offset:         36
        .size:           4
        .value_kind:     hidden_block_count_y
      - .offset:         40
        .size:           4
        .value_kind:     hidden_block_count_z
      - .offset:         44
        .size:           2
        .value_kind:     hidden_group_size_x
      - .offset:         46
        .size:           2
        .value_kind:     hidden_group_size_y
      - .offset:         48
        .size:           2
        .value_kind:     hidden_group_size_z
      - .offset:         50
        .size:           2
        .value_kind:     hidden_remainder_x
      - .offset:         52
        .size:           2
        .value_kind:     hidden_remainder_y
      - .offset:         54
        .size:           2
        .value_kind:     hidden_remainder_z
      - .offset:         72
        .size:           8
        .value_kind:     hidden_global_offset_x
      - .offset:         80
        .size:           8
        .value_kind:     hidden_global_offset_y
      - .offset:         88
        .size:           8
        .value_kind:     hidden_global_offset_z
      - .offset:         96
        .size:           2
        .value_kind:     hidden_grid_dims
      - .offset:         152
        .size:           4
        .value_kind:     hidden_dynamic_lds_size
    .group_segment_fixed_size: 0
    .kernarg_segment_align: 8
    .kernarg_segment_size: 288
    .language:       OpenCL C
    .language_version:
      - 2
      - 0
    .max_flat_workgroup_size: 1024
    .name:           _Z22derivative_y2_zerofluxPKfPfjjj
    .private_segment_fixed_size: 0
    .sgpr_count:     20
    .sgpr_spill_count: 0
    .symbol:         _Z22derivative_y2_zerofluxPKfPfjjj.kd
    .uniform_work_group_size: 1
    .uses_dynamic_stack: false
    .vgpr_count:     8
    .vgpr_spill_count: 0
    .wavefront_size: 64
  - .args:
      - .actual_access:  read_only
        .address_space:  global
        .offset:         0
        .size:           8
        .value_kind:     global_buffer
      - .actual_access:  write_only
        .address_space:  global
        .offset:         8
        .size:           8
        .value_kind:     global_buffer
      - .offset:         16
        .size:           4
        .value_kind:     by_value
      - .offset:         20
        .size:           4
        .value_kind:     by_value
      - .offset:         24
        .size:           4
        .value_kind:     by_value
      - .offset:         28
        .size:           4
        .value_kind:     by_value
      - .offset:         32
        .size:           4
        .value_kind:     hidden_block_count_x
      - .offset:         36
        .size:           4
        .value_kind:     hidden_block_count_y
      - .offset:         40
        .size:           4
        .value_kind:     hidden_block_count_z
      - .offset:         44
        .size:           2
        .value_kind:     hidden_group_size_x
      - .offset:         46
        .size:           2
        .value_kind:     hidden_group_size_y
      - .offset:         48
        .size:           2
        .value_kind:     hidden_group_size_z
      - .offset:         50
        .size:           2
        .value_kind:     hidden_remainder_x
      - .offset:         52
        .size:           2
        .value_kind:     hidden_remainder_y
      - .offset:         54
        .size:           2
        .value_kind:     hidden_remainder_z
      - .offset:         72
        .size:           8
        .value_kind:     hidden_global_offset_x
      - .offset:         80
        .size:           8
        .value_kind:     hidden_global_offset_y
      - .offset:         88
        .size:           8
        .value_kind:     hidden_global_offset_z
      - .offset:         96
        .size:           2
        .value_kind:     hidden_grid_dims
      - .offset:         152
        .size:           4
        .value_kind:     hidden_dynamic_lds_size
    .group_segment_fixed_size: 0
    .kernarg_segment_align: 8
    .kernarg_segment_size: 288
    .language:       OpenCL C
    .language_version:
      - 2
      - 0
    .max_flat_workgroup_size: 1024
    .name:           _Z17derivative_z2_pbcPKfPfjjjj
    .private_segment_fixed_size: 0
    .sgpr_count:     20
    .sgpr_spill_count: 0
    .symbol:         _Z17derivative_z2_pbcPKfPfjjjj.kd
    .uniform_work_group_size: 1
    .uses_dynamic_stack: false
    .vgpr_count:     9
    .vgpr_spill_count: 0
    .wavefront_size: 64
  - .args:
      - .actual_access:  read_only
        .address_space:  global
        .offset:         0
        .size:           8
        .value_kind:     global_buffer
      - .actual_access:  write_only
        .address_space:  global
        .offset:         8
        .size:           8
        .value_kind:     global_buffer
      - .offset:         16
        .size:           4
        .value_kind:     by_value
      - .offset:         20
        .size:           4
        .value_kind:     by_value
      - .offset:         24
        .size:           4
        .value_kind:     by_value
      - .offset:         28
        .size:           4
        .value_kind:     by_value
      - .offset:         32
        .size:           4
        .value_kind:     hidden_block_count_x
      - .offset:         36
        .size:           4
        .value_kind:     hidden_block_count_y
      - .offset:         40
        .size:           4
        .value_kind:     hidden_block_count_z
      - .offset:         44
        .size:           2
        .value_kind:     hidden_group_size_x
      - .offset:         46
        .size:           2
        .value_kind:     hidden_group_size_y
      - .offset:         48
        .size:           2
        .value_kind:     hidden_group_size_z
      - .offset:         50
        .size:           2
        .value_kind:     hidden_remainder_x
      - .offset:         52
        .size:           2
        .value_kind:     hidden_remainder_y
      - .offset:         54
        .size:           2
        .value_kind:     hidden_remainder_z
      - .offset:         72
        .size:           8
        .value_kind:     hidden_global_offset_x
      - .offset:         80
        .size:           8
        .value_kind:     hidden_global_offset_y
      - .offset:         88
        .size:           8
        .value_kind:     hidden_global_offset_z
      - .offset:         96
        .size:           2
        .value_kind:     hidden_grid_dims
      - .offset:         152
        .size:           4
        .value_kind:     hidden_dynamic_lds_size
    .group_segment_fixed_size: 0
    .kernarg_segment_align: 8
    .kernarg_segment_size: 288
    .language:       OpenCL C
    .language_version:
      - 2
      - 0
    .max_flat_workgroup_size: 1024
    .name:           _Z22derivative_z2_zerofluxPKfPfjjjj
    .private_segment_fixed_size: 0
    .sgpr_count:     20
    .sgpr_spill_count: 0
    .symbol:         _Z22derivative_z2_zerofluxPKfPfjjjj.kd
    .uniform_work_group_size: 1
    .uses_dynamic_stack: false
    .vgpr_count:     8
    .vgpr_spill_count: 0
    .wavefront_size: 64
  - .args:
      - .actual_access:  write_only
        .address_space:  global
        .offset:         0
        .size:           8
        .value_kind:     global_buffer
      - .actual_access:  read_only
        .address_space:  global
        .offset:         8
        .size:           8
        .value_kind:     global_buffer
      - .actual_access:  read_only
        .address_space:  global
        .offset:         16
        .size:           8
        .value_kind:     global_buffer
      - .actual_access:  read_only
        .address_space:  global
        .offset:         24
        .size:           8
        .value_kind:     global_buffer
      - .offset:         32
        .size:           4
        .value_kind:     by_value
      - .offset:         36
        .size:           4
        .value_kind:     by_value
      - .offset:         40
        .size:           4
        .value_kind:     hidden_block_count_x
      - .offset:         44
        .size:           4
        .value_kind:     hidden_block_count_y
      - .offset:         48
        .size:           4
        .value_kind:     hidden_block_count_z
      - .offset:         52
        .size:           2
        .value_kind:     hidden_group_size_x
      - .offset:         54
        .size:           2
        .value_kind:     hidden_group_size_y
      - .offset:         56
        .size:           2
        .value_kind:     hidden_group_size_z
      - .offset:         58
        .size:           2
        .value_kind:     hidden_remainder_x
      - .offset:         60
        .size:           2
        .value_kind:     hidden_remainder_y
      - .offset:         62
        .size:           2
        .value_kind:     hidden_remainder_z
      - .offset:         80
        .size:           8
        .value_kind:     hidden_global_offset_x
      - .offset:         88
        .size:           8
        .value_kind:     hidden_global_offset_y
      - .offset:         96
        .size:           8
        .value_kind:     hidden_global_offset_z
      - .offset:         104
        .size:           2
        .value_kind:     hidden_grid_dims
    .group_segment_fixed_size: 0
    .kernarg_segment_align: 8
    .kernarg_segment_size: 296
    .language:       OpenCL C
    .language_version:
      - 2
      - 0
    .max_flat_workgroup_size: 1024
    .name:           _Z19construct_laplacianPfPKfS1_S1_jf
    .private_segment_fixed_size: 0
    .sgpr_count:     20
    .sgpr_spill_count: 0
    .symbol:         _Z19construct_laplacianPfPKfS1_S1_jf.kd
    .uniform_work_group_size: 1
    .uses_dynamic_stack: false
    .vgpr_count:     17
    .vgpr_spill_count: 0
    .wavefront_size: 64
  - .args:
      - .address_space:  global
        .offset:         0
        .size:           8
        .value_kind:     global_buffer
      - .address_space:  global
        .offset:         8
        .size:           8
        .value_kind:     global_buffer
      - .actual_access:  read_only
        .address_space:  global
        .offset:         16
        .size:           8
        .value_kind:     global_buffer
      - .actual_access:  read_only
        .address_space:  global
        .offset:         24
        .size:           8
        .value_kind:     global_buffer
      - .actual_access:  read_only
        .address_space:  global
        .offset:         32
        .size:           8
        .value_kind:     global_buffer
      - .actual_access:  read_only
        .address_space:  global
        .offset:         40
        .size:           8
        .value_kind:     global_buffer
      - .offset:         48
        .size:           4
        .value_kind:     by_value
      - .offset:         52
        .size:           4
        .value_kind:     by_value
      - .offset:         56
        .size:           4
        .value_kind:     hidden_block_count_x
      - .offset:         60
        .size:           4
        .value_kind:     hidden_block_count_y
      - .offset:         64
        .size:           4
        .value_kind:     hidden_block_count_z
      - .offset:         68
        .size:           2
        .value_kind:     hidden_group_size_x
      - .offset:         70
        .size:           2
        .value_kind:     hidden_group_size_y
      - .offset:         72
        .size:           2
        .value_kind:     hidden_group_size_z
      - .offset:         74
        .size:           2
        .value_kind:     hidden_remainder_x
      - .offset:         76
        .size:           2
        .value_kind:     hidden_remainder_y
      - .offset:         78
        .size:           2
        .value_kind:     hidden_remainder_z
      - .offset:         96
        .size:           8
        .value_kind:     hidden_global_offset_x
      - .offset:         104
        .size:           8
        .value_kind:     hidden_global_offset_y
      - .offset:         112
        .size:           8
        .value_kind:     hidden_global_offset_z
      - .offset:         120
        .size:           2
        .value_kind:     hidden_grid_dims
    .group_segment_fixed_size: 0
    .kernarg_segment_align: 8
    .kernarg_segment_size: 312
    .language:       OpenCL C
    .language_version:
      - 2
      - 0
    .max_flat_workgroup_size: 1024
    .name:           _Z6updatePfS_PKfS1_S1_S1_jf
    .private_segment_fixed_size: 0
    .sgpr_count:     24
    .sgpr_spill_count: 0
    .symbol:         _Z6updatePfS_PKfS1_S1_S1_jf.kd
    .uniform_work_group_size: 1
    .uses_dynamic_stack: false
    .vgpr_count:     21
    .vgpr_spill_count: 0
    .wavefront_size: 64
amdhsa.target:   amdgcn-amd-amdhsa--gfx906
amdhsa.version:
  - 1
  - 2
...

	.end_amdgpu_metadata
